;; amdgpu-corpus repo=ROCm/rocFFT kind=compiled arch=gfx906 opt=O3
	.text
	.amdgcn_target "amdgcn-amd-amdhsa--gfx906"
	.amdhsa_code_object_version 6
	.protected	fft_rtc_fwd_len528_factors_4_4_3_11_wgs_48_tpt_48_halfLds_sp_ip_CI_sbrr_dirReg ; -- Begin function fft_rtc_fwd_len528_factors_4_4_3_11_wgs_48_tpt_48_halfLds_sp_ip_CI_sbrr_dirReg
	.globl	fft_rtc_fwd_len528_factors_4_4_3_11_wgs_48_tpt_48_halfLds_sp_ip_CI_sbrr_dirReg
	.p2align	8
	.type	fft_rtc_fwd_len528_factors_4_4_3_11_wgs_48_tpt_48_halfLds_sp_ip_CI_sbrr_dirReg,@function
fft_rtc_fwd_len528_factors_4_4_3_11_wgs_48_tpt_48_halfLds_sp_ip_CI_sbrr_dirReg: ; @fft_rtc_fwd_len528_factors_4_4_3_11_wgs_48_tpt_48_halfLds_sp_ip_CI_sbrr_dirReg
; %bb.0:
	s_load_dwordx2 s[2:3], s[4:5], 0x18
	s_load_dwordx4 s[8:11], s[4:5], 0x0
	s_load_dwordx2 s[14:15], s[4:5], 0x50
	v_mul_u32_u24_e32 v1, 0x556, v0
	v_add_u32_sdwa v5, s6, v1 dst_sel:DWORD dst_unused:UNUSED_PAD src0_sel:DWORD src1_sel:WORD_1
	s_waitcnt lgkmcnt(0)
	s_load_dwordx2 s[12:13], s[2:3], 0x0
	v_cmp_lt_u64_e64 s[0:1], s[10:11], 2
	v_mov_b32_e32 v3, 0
	v_mov_b32_e32 v1, 0
	;; [unrolled: 1-line block ×3, first 2 shown]
	s_and_b64 vcc, exec, s[0:1]
	v_mov_b32_e32 v2, 0
	s_cbranch_vccnz .LBB0_8
; %bb.1:
	s_load_dwordx2 s[0:1], s[4:5], 0x10
	s_add_u32 s6, s2, 8
	s_addc_u32 s7, s3, 0
	v_mov_b32_e32 v1, 0
	v_mov_b32_e32 v2, 0
	s_waitcnt lgkmcnt(0)
	s_add_u32 s16, s0, 8
	s_addc_u32 s17, s1, 0
	s_mov_b64 s[18:19], 1
.LBB0_2:                                ; =>This Inner Loop Header: Depth=1
	s_load_dwordx2 s[20:21], s[16:17], 0x0
                                        ; implicit-def: $vgpr7_vgpr8
	s_waitcnt lgkmcnt(0)
	v_or_b32_e32 v4, s21, v6
	v_cmp_ne_u64_e32 vcc, 0, v[3:4]
	s_and_saveexec_b64 s[0:1], vcc
	s_xor_b64 s[22:23], exec, s[0:1]
	s_cbranch_execz .LBB0_4
; %bb.3:                                ;   in Loop: Header=BB0_2 Depth=1
	v_cvt_f32_u32_e32 v4, s20
	v_cvt_f32_u32_e32 v7, s21
	s_sub_u32 s0, 0, s20
	s_subb_u32 s1, 0, s21
	v_mac_f32_e32 v4, 0x4f800000, v7
	v_rcp_f32_e32 v4, v4
	v_mul_f32_e32 v4, 0x5f7ffffc, v4
	v_mul_f32_e32 v7, 0x2f800000, v4
	v_trunc_f32_e32 v7, v7
	v_mac_f32_e32 v4, 0xcf800000, v7
	v_cvt_u32_f32_e32 v7, v7
	v_cvt_u32_f32_e32 v4, v4
	v_mul_lo_u32 v8, s0, v7
	v_mul_hi_u32 v9, s0, v4
	v_mul_lo_u32 v11, s1, v4
	v_mul_lo_u32 v10, s0, v4
	v_add_u32_e32 v8, v9, v8
	v_add_u32_e32 v8, v8, v11
	v_mul_hi_u32 v9, v4, v10
	v_mul_lo_u32 v11, v4, v8
	v_mul_hi_u32 v13, v4, v8
	v_mul_hi_u32 v12, v7, v10
	v_mul_lo_u32 v10, v7, v10
	v_mul_hi_u32 v14, v7, v8
	v_add_co_u32_e32 v9, vcc, v9, v11
	v_addc_co_u32_e32 v11, vcc, 0, v13, vcc
	v_mul_lo_u32 v8, v7, v8
	v_add_co_u32_e32 v9, vcc, v9, v10
	v_addc_co_u32_e32 v9, vcc, v11, v12, vcc
	v_addc_co_u32_e32 v10, vcc, 0, v14, vcc
	v_add_co_u32_e32 v8, vcc, v9, v8
	v_addc_co_u32_e32 v9, vcc, 0, v10, vcc
	v_add_co_u32_e32 v4, vcc, v4, v8
	v_addc_co_u32_e32 v7, vcc, v7, v9, vcc
	v_mul_lo_u32 v8, s0, v7
	v_mul_hi_u32 v9, s0, v4
	v_mul_lo_u32 v10, s1, v4
	v_mul_lo_u32 v11, s0, v4
	v_add_u32_e32 v8, v9, v8
	v_add_u32_e32 v8, v8, v10
	v_mul_lo_u32 v12, v4, v8
	v_mul_hi_u32 v13, v4, v11
	v_mul_hi_u32 v14, v4, v8
	;; [unrolled: 1-line block ×3, first 2 shown]
	v_mul_lo_u32 v11, v7, v11
	v_mul_hi_u32 v9, v7, v8
	v_add_co_u32_e32 v12, vcc, v13, v12
	v_addc_co_u32_e32 v13, vcc, 0, v14, vcc
	v_mul_lo_u32 v8, v7, v8
	v_add_co_u32_e32 v11, vcc, v12, v11
	v_addc_co_u32_e32 v10, vcc, v13, v10, vcc
	v_addc_co_u32_e32 v9, vcc, 0, v9, vcc
	v_add_co_u32_e32 v8, vcc, v10, v8
	v_addc_co_u32_e32 v9, vcc, 0, v9, vcc
	v_add_co_u32_e32 v4, vcc, v4, v8
	v_addc_co_u32_e32 v9, vcc, v7, v9, vcc
	v_mad_u64_u32 v[7:8], s[0:1], v5, v9, 0
	v_mul_hi_u32 v10, v5, v4
	v_add_co_u32_e32 v11, vcc, v10, v7
	v_addc_co_u32_e32 v12, vcc, 0, v8, vcc
	v_mad_u64_u32 v[7:8], s[0:1], v6, v4, 0
	v_mad_u64_u32 v[9:10], s[0:1], v6, v9, 0
	v_add_co_u32_e32 v4, vcc, v11, v7
	v_addc_co_u32_e32 v4, vcc, v12, v8, vcc
	v_addc_co_u32_e32 v7, vcc, 0, v10, vcc
	v_add_co_u32_e32 v4, vcc, v4, v9
	v_addc_co_u32_e32 v9, vcc, 0, v7, vcc
	v_mul_lo_u32 v10, s21, v4
	v_mul_lo_u32 v11, s20, v9
	v_mad_u64_u32 v[7:8], s[0:1], s20, v4, 0
	v_add3_u32 v8, v8, v11, v10
	v_sub_u32_e32 v10, v6, v8
	v_mov_b32_e32 v11, s21
	v_sub_co_u32_e32 v7, vcc, v5, v7
	v_subb_co_u32_e64 v10, s[0:1], v10, v11, vcc
	v_subrev_co_u32_e64 v11, s[0:1], s20, v7
	v_subbrev_co_u32_e64 v10, s[0:1], 0, v10, s[0:1]
	v_cmp_le_u32_e64 s[0:1], s21, v10
	v_cndmask_b32_e64 v12, 0, -1, s[0:1]
	v_cmp_le_u32_e64 s[0:1], s20, v11
	v_cndmask_b32_e64 v11, 0, -1, s[0:1]
	v_cmp_eq_u32_e64 s[0:1], s21, v10
	v_cndmask_b32_e64 v10, v12, v11, s[0:1]
	v_add_co_u32_e64 v11, s[0:1], 2, v4
	v_addc_co_u32_e64 v12, s[0:1], 0, v9, s[0:1]
	v_add_co_u32_e64 v13, s[0:1], 1, v4
	v_addc_co_u32_e64 v14, s[0:1], 0, v9, s[0:1]
	v_subb_co_u32_e32 v8, vcc, v6, v8, vcc
	v_cmp_ne_u32_e64 s[0:1], 0, v10
	v_cmp_le_u32_e32 vcc, s21, v8
	v_cndmask_b32_e64 v10, v14, v12, s[0:1]
	v_cndmask_b32_e64 v12, 0, -1, vcc
	v_cmp_le_u32_e32 vcc, s20, v7
	v_cndmask_b32_e64 v7, 0, -1, vcc
	v_cmp_eq_u32_e32 vcc, s21, v8
	v_cndmask_b32_e32 v7, v12, v7, vcc
	v_cmp_ne_u32_e32 vcc, 0, v7
	v_cndmask_b32_e64 v7, v13, v11, s[0:1]
	v_cndmask_b32_e32 v8, v9, v10, vcc
	v_cndmask_b32_e32 v7, v4, v7, vcc
.LBB0_4:                                ;   in Loop: Header=BB0_2 Depth=1
	s_andn2_saveexec_b64 s[0:1], s[22:23]
	s_cbranch_execz .LBB0_6
; %bb.5:                                ;   in Loop: Header=BB0_2 Depth=1
	v_cvt_f32_u32_e32 v4, s20
	s_sub_i32 s22, 0, s20
	v_rcp_iflag_f32_e32 v4, v4
	v_mul_f32_e32 v4, 0x4f7ffffe, v4
	v_cvt_u32_f32_e32 v4, v4
	v_mul_lo_u32 v7, s22, v4
	v_mul_hi_u32 v7, v4, v7
	v_add_u32_e32 v4, v4, v7
	v_mul_hi_u32 v4, v5, v4
	v_mul_lo_u32 v7, v4, s20
	v_add_u32_e32 v8, 1, v4
	v_sub_u32_e32 v7, v5, v7
	v_subrev_u32_e32 v9, s20, v7
	v_cmp_le_u32_e32 vcc, s20, v7
	v_cndmask_b32_e32 v7, v7, v9, vcc
	v_cndmask_b32_e32 v4, v4, v8, vcc
	v_add_u32_e32 v8, 1, v4
	v_cmp_le_u32_e32 vcc, s20, v7
	v_cndmask_b32_e32 v7, v4, v8, vcc
	v_mov_b32_e32 v8, v3
.LBB0_6:                                ;   in Loop: Header=BB0_2 Depth=1
	s_or_b64 exec, exec, s[0:1]
	v_mul_lo_u32 v4, v8, s20
	v_mul_lo_u32 v11, v7, s21
	v_mad_u64_u32 v[9:10], s[0:1], v7, s20, 0
	s_load_dwordx2 s[0:1], s[6:7], 0x0
	s_add_u32 s18, s18, 1
	v_add3_u32 v4, v10, v11, v4
	v_sub_co_u32_e32 v5, vcc, v5, v9
	v_subb_co_u32_e32 v4, vcc, v6, v4, vcc
	s_waitcnt lgkmcnt(0)
	v_mul_lo_u32 v4, s0, v4
	v_mul_lo_u32 v6, s1, v5
	v_mad_u64_u32 v[1:2], s[0:1], s0, v5, v[1:2]
	s_addc_u32 s19, s19, 0
	s_add_u32 s6, s6, 8
	v_add3_u32 v2, v6, v2, v4
	v_mov_b32_e32 v4, s10
	v_mov_b32_e32 v5, s11
	s_addc_u32 s7, s7, 0
	v_cmp_ge_u64_e32 vcc, s[18:19], v[4:5]
	s_add_u32 s16, s16, 8
	s_addc_u32 s17, s17, 0
	s_cbranch_vccnz .LBB0_9
; %bb.7:                                ;   in Loop: Header=BB0_2 Depth=1
	v_mov_b32_e32 v5, v7
	v_mov_b32_e32 v6, v8
	s_branch .LBB0_2
.LBB0_8:
	v_mov_b32_e32 v8, v6
	v_mov_b32_e32 v7, v5
.LBB0_9:
	s_lshl_b64 s[0:1], s[10:11], 3
	s_add_u32 s0, s2, s0
	s_addc_u32 s1, s3, s1
	s_load_dwordx2 s[2:3], s[0:1], 0x0
	s_load_dwordx2 s[6:7], s[4:5], 0x20
                                        ; implicit-def: $sgpr4
                                        ; implicit-def: $sgpr5
	s_waitcnt lgkmcnt(0)
	v_mad_u64_u32 v[1:2], s[0:1], s2, v7, v[1:2]
	s_mov_b32 s0, 0x5555556
	v_mul_lo_u32 v3, s2, v8
	v_mul_lo_u32 v4, s3, v7
	v_mul_hi_u32 v5, v0, s0
	v_cmp_gt_u64_e32 vcc, s[6:7], v[7:8]
	v_cmp_le_u64_e64 s[0:1], s[6:7], v[7:8]
	v_add3_u32 v2, v4, v2, v3
	v_mul_u32_u24_e32 v3, 48, v5
	v_sub_u32_e32 v29, v0, v3
	v_add_u32_e32 v30, 48, v29
	s_and_saveexec_b64 s[2:3], s[0:1]
	s_xor_b64 s[0:1], exec, s[2:3]
; %bb.10:
	v_add_u32_e32 v30, 48, v29
	s_mov_b32 s5, 0
	s_mov_b32 s4, 0
; %bb.11:
	s_or_saveexec_b64 s[2:3], s[0:1]
	v_lshlrev_b64 v[4:5], 3, v[1:2]
	v_mov_b32_e32 v23, s5
	v_mov_b32_e32 v28, s4
	v_mov_b32_e32 v22, s5
	v_mov_b32_e32 v25, s5
	v_mov_b32_e32 v24, s5
                                        ; implicit-def: $vgpr1
                                        ; implicit-def: $vgpr3
                                        ; implicit-def: $vgpr14
                                        ; implicit-def: $vgpr9
                                        ; implicit-def: $vgpr12
                                        ; implicit-def: $vgpr16
                                        ; implicit-def: $vgpr18
                                        ; implicit-def: $vgpr27
                                        ; implicit-def: $vgpr20
                                        ; implicit-def: $vgpr7
	s_xor_b64 exec, exec, s[2:3]
	s_cbranch_execz .LBB0_15
; %bb.12:
	v_mad_u64_u32 v[0:1], s[0:1], s12, v29, 0
	v_add_u32_e32 v7, 0x84, v29
	v_mov_b32_e32 v6, s15
	v_mad_u64_u32 v[1:2], s[0:1], s13, v29, v[1:2]
	v_mad_u64_u32 v[2:3], s[0:1], s12, v7, 0
	v_add_co_u32_e64 v10, s[0:1], s14, v4
	v_addc_co_u32_e64 v20, s[0:1], v6, v5, s[0:1]
	v_mad_u64_u32 v[6:7], s[0:1], s13, v7, v[3:4]
	v_add_u32_e32 v9, 0x108, v29
	v_mad_u64_u32 v[7:8], s[0:1], s12, v9, 0
	v_lshlrev_b64 v[0:1], 3, v[0:1]
	v_mov_b32_e32 v3, v6
	v_add_co_u32_e64 v21, s[0:1], v10, v0
	v_addc_co_u32_e64 v22, s[0:1], v20, v1, s[0:1]
	v_lshlrev_b64 v[0:1], 3, v[2:3]
	v_mov_b32_e32 v2, v8
	v_mad_u64_u32 v[2:3], s[0:1], s13, v9, v[2:3]
	v_add_u32_e32 v3, 0x18c, v29
	v_mad_u64_u32 v[11:12], s[0:1], s12, v3, 0
	v_add_co_u32_e64 v23, s[0:1], v10, v0
	v_mov_b32_e32 v8, v2
	v_mov_b32_e32 v2, v12
	v_addc_co_u32_e64 v24, s[0:1], v20, v1, s[0:1]
	v_lshlrev_b64 v[0:1], 3, v[7:8]
	v_mad_u64_u32 v[2:3], s[0:1], s13, v3, v[2:3]
	v_mad_u64_u32 v[6:7], s[0:1], s12, v30, 0
	v_add_co_u32_e64 v25, s[0:1], v10, v0
	v_mov_b32_e32 v12, v2
	v_mov_b32_e32 v2, v7
	v_addc_co_u32_e64 v26, s[0:1], v20, v1, s[0:1]
	v_mad_u64_u32 v[2:3], s[0:1], s13, v30, v[2:3]
	v_add_u32_e32 v3, 0xb4, v29
	v_mad_u64_u32 v[8:9], s[0:1], s12, v3, 0
	v_lshlrev_b64 v[0:1], 3, v[11:12]
	v_mov_b32_e32 v7, v2
	v_add_co_u32_e64 v27, s[0:1], v10, v0
	v_mov_b32_e32 v2, v9
	v_addc_co_u32_e64 v28, s[0:1], v20, v1, s[0:1]
	v_mad_u64_u32 v[2:3], s[0:1], s13, v3, v[2:3]
	v_add_u32_e32 v3, 0x138, v29
	v_lshlrev_b64 v[0:1], 3, v[6:7]
	v_mad_u64_u32 v[6:7], s[0:1], s12, v3, 0
	v_add_co_u32_e64 v31, s[0:1], v10, v0
	v_mov_b32_e32 v9, v2
	v_mov_b32_e32 v2, v7
	v_addc_co_u32_e64 v32, s[0:1], v20, v1, s[0:1]
	v_mad_u64_u32 v[2:3], s[0:1], s13, v3, v[2:3]
	v_add_u32_e32 v3, 0x1bc, v29
	v_lshlrev_b64 v[0:1], 3, v[8:9]
	v_mad_u64_u32 v[8:9], s[0:1], s12, v3, 0
	v_add_co_u32_e64 v33, s[0:1], v10, v0
	v_mov_b32_e32 v7, v2
	v_mov_b32_e32 v2, v9
	v_addc_co_u32_e64 v34, s[0:1], v20, v1, s[0:1]
	v_mad_u64_u32 v[2:3], s[0:1], s13, v3, v[2:3]
	v_lshlrev_b64 v[0:1], 3, v[6:7]
                                        ; implicit-def: $vgpr19
	v_add_co_u32_e64 v35, s[0:1], v10, v0
	v_mov_b32_e32 v9, v2
	v_addc_co_u32_e64 v36, s[0:1], v20, v1, s[0:1]
	v_lshlrev_b64 v[0:1], 3, v[8:9]
	v_add_co_u32_e64 v37, s[0:1], v10, v0
	v_addc_co_u32_e64 v38, s[0:1], v20, v1, s[0:1]
	global_load_dwordx2 v[0:1], v[21:22], off
	global_load_dwordx2 v[2:3], v[23:24], off
	;; [unrolled: 1-line block ×8, first 2 shown]
	v_cmp_gt_u32_e64 s[0:1], 36, v29
	v_mov_b32_e32 v24, 0
	v_mov_b32_e32 v25, 0
	v_mov_b32_e32 v22, 0
	v_mov_b32_e32 v23, 0
                                        ; implicit-def: $vgpr26
	s_and_saveexec_b64 s[4:5], s[0:1]
	s_cbranch_execz .LBB0_14
; %bb.13:
	v_add_u32_e32 v25, 0x60, v29
	v_mad_u64_u32 v[21:22], s[0:1], s12, v25, 0
	v_add_u32_e32 v27, 0xe4, v29
	v_mad_u64_u32 v[23:24], s[0:1], s12, v27, 0
	v_mov_b32_e32 v19, v22
	v_mad_u64_u32 v[25:26], s[0:1], s13, v25, v[19:20]
	v_mov_b32_e32 v19, v24
	v_mov_b32_e32 v22, v25
	v_mad_u64_u32 v[24:25], s[0:1], s13, v27, v[19:20]
	v_add_u32_e32 v27, 0x168, v29
	v_mad_u64_u32 v[25:26], s[0:1], s12, v27, 0
	v_lshlrev_b64 v[21:22], 3, v[21:22]
	v_add_co_u32_e64 v31, s[0:1], v10, v21
	v_mov_b32_e32 v19, v26
	v_addc_co_u32_e64 v32, s[0:1], v20, v22, s[0:1]
	v_lshlrev_b64 v[21:22], 3, v[23:24]
	v_mad_u64_u32 v[23:24], s[0:1], s13, v27, v[19:20]
	v_add_u32_e32 v24, 0x1ec, v29
	v_mad_u64_u32 v[27:28], s[0:1], s12, v24, 0
	v_add_co_u32_e64 v33, s[0:1], v10, v21
	v_mov_b32_e32 v19, v28
	v_addc_co_u32_e64 v34, s[0:1], v20, v22, s[0:1]
	v_mov_b32_e32 v26, v23
	v_mad_u64_u32 v[23:24], s[0:1], s13, v24, v[19:20]
	v_lshlrev_b64 v[21:22], 3, v[25:26]
	v_add_co_u32_e64 v35, s[0:1], v10, v21
	v_mov_b32_e32 v28, v23
	v_addc_co_u32_e64 v36, s[0:1], v20, v22, s[0:1]
	v_lshlrev_b64 v[21:22], 3, v[27:28]
	v_add_co_u32_e64 v37, s[0:1], v10, v21
	v_addc_co_u32_e64 v38, s[0:1], v20, v22, s[0:1]
	global_load_dwordx2 v[22:23], v[31:32], off
	global_load_dwordx2 v[24:25], v[33:34], off
	;; [unrolled: 1-line block ×4, first 2 shown]
.LBB0_14:
	s_or_b64 exec, exec, s[4:5]
	v_mov_b32_e32 v28, v29
.LBB0_15:
	s_or_b64 exec, exec, s[2:3]
	s_waitcnt vmcnt(5)
	v_sub_f32_e32 v10, v0, v13
	s_waitcnt vmcnt(4)
	v_sub_f32_e32 v13, v2, v8
	v_fma_f32 v0, v0, 2.0, -v10
	v_sub_f32_e32 v34, v3, v9
	v_fma_f32 v2, v2, 2.0, -v13
	v_sub_f32_e32 v8, v0, v2
	v_sub_f32_e32 v9, v10, v34
	v_fma_f32 v31, v0, 2.0, -v8
	v_fma_f32 v32, v10, 2.0, -v9
	s_waitcnt vmcnt(1)
	v_sub_f32_e32 v0, v11, v17
	v_lshl_add_u32 v2, v29, 4, 0
	s_waitcnt vmcnt(0)
	v_sub_f32_e32 v35, v15, v6
	ds_write2_b64 v2, v[31:32], v[8:9] offset1:1
	v_fma_f32 v8, v11, 2.0, -v0
	v_sub_f32_e32 v37, v16, v7
	v_fma_f32 v6, v15, 2.0, -v35
	v_sub_f32_e32 v6, v8, v6
	v_sub_f32_e32 v7, v0, v37
	v_fma_f32 v8, v8, 2.0, -v6
	v_fma_f32 v9, v0, 2.0, -v7
	v_lshl_add_u32 v0, v30, 4, 0
	ds_write2_b64 v0, v[8:9], v[6:7] offset1:1
	v_sub_f32_e32 v8, v22, v26
	v_sub_f32_e32 v15, v24, v19
	v_fma_f32 v9, v22, 2.0, -v8
	v_sub_f32_e32 v26, v25, v20
	v_fma_f32 v6, v24, 2.0, -v15
	v_sub_f32_e32 v6, v9, v6
	v_sub_f32_e32 v7, v8, v26
	v_add_u32_e32 v32, 0x60, v29
	v_fma_f32 v19, v9, 2.0, -v6
	v_fma_f32 v20, v8, 2.0, -v7
	v_cmp_gt_u32_e64 s[0:1], 36, v29
	v_lshl_add_u32 v17, v32, 4, 0
	s_and_saveexec_b64 s[2:3], s[0:1]
	s_cbranch_execz .LBB0_17
; %bb.16:
	ds_write2_b64 v17, v[19:20], v[6:7] offset1:1
.LBB0_17:
	s_or_b64 exec, exec, s[2:3]
	v_mad_i32_i24 v24, v29, -12, v2
	v_add_u32_e32 v8, 0x200, v24
	s_waitcnt lgkmcnt(0)
	; wave barrier
	s_waitcnt lgkmcnt(0)
	ds_read2_b32 v[10:11], v8 offset0:52 offset1:136
	v_add_u32_e32 v8, 0x400, v24
	v_mad_i32_i24 v31, v30, -12, v0
	ds_read2_b32 v[21:22], v24 offset1:132
	ds_read2_b32 v[8:9], v8 offset0:56 offset1:140
	ds_read_b32 v33, v31
	ds_read_b32 v36, v24 offset:1776
	v_mul_i32_i24_e32 v24, -12, v29
	v_add_u32_e32 v31, v2, v24
	s_and_saveexec_b64 s[2:3], s[0:1]
	s_cbranch_execz .LBB0_19
; %bb.18:
	v_add_u32_e32 v6, 0x400, v31
	ds_read2_b32 v[19:20], v31 offset0:96 offset1:228
	ds_read2_b32 v[6:7], v6 offset0:104 offset1:236
.LBB0_19:
	s_or_b64 exec, exec, s[2:3]
	v_sub_f32_e32 v14, v1, v14
	v_fma_f32 v1, v1, 2.0, -v14
	v_fma_f32 v3, v3, 2.0, -v34
	v_sub_f32_e32 v39, v1, v3
	v_fma_f32 v41, v1, 2.0, -v39
	v_sub_f32_e32 v1, v12, v18
	v_fma_f32 v3, v12, 2.0, -v1
	v_fma_f32 v12, v16, 2.0, -v37
	v_add_f32_e32 v35, v1, v35
	v_sub_f32_e32 v34, v3, v12
	v_fma_f32 v44, v1, 2.0, -v35
	v_sub_f32_e32 v1, v23, v27
	v_add_f32_e32 v40, v14, v13
	v_fma_f32 v43, v3, 2.0, -v34
	v_fma_f32 v3, v23, 2.0, -v1
	;; [unrolled: 1-line block ×4, first 2 shown]
	v_sub_f32_e32 v14, v3, v12
	v_add_f32_e32 v15, v1, v15
	v_mul_i32_i24_e32 v38, -12, v30
	v_fma_f32 v12, v3, 2.0, -v14
	v_fma_f32 v13, v1, 2.0, -v15
	s_waitcnt lgkmcnt(0)
	; wave barrier
	s_waitcnt lgkmcnt(0)
	ds_write2_b64 v2, v[41:42], v[39:40] offset1:1
	ds_write2_b64 v0, v[43:44], v[34:35] offset1:1
	s_and_saveexec_b64 s[2:3], s[0:1]
	s_cbranch_execz .LBB0_21
; %bb.20:
	ds_write2_b64 v17, v[12:13], v[14:15] offset1:1
.LBB0_21:
	s_or_b64 exec, exec, s[2:3]
	v_add_u32_e32 v1, 0x200, v31
	s_waitcnt lgkmcnt(0)
	; wave barrier
	s_waitcnt lgkmcnt(0)
	ds_read2_b32 v[25:26], v1 offset0:52 offset1:136
	v_add_u32_e32 v1, 0x400, v31
	v_add_u32_e32 v27, v0, v38
	ds_read2_b32 v[16:17], v31 offset1:132
	ds_read2_b32 v[23:24], v1 offset0:56 offset1:140
	ds_read_b32 v34, v27
	ds_read_b32 v18, v31 offset:1776
	v_lshlrev_b32_e32 v37, 2, v29
	v_lshlrev_b32_e32 v38, 2, v30
	s_and_saveexec_b64 s[2:3], s[0:1]
	s_cbranch_execz .LBB0_23
; %bb.22:
	ds_read2_b32 v[12:13], v31 offset0:96 offset1:228
	ds_read2_b32 v[14:15], v1 offset0:104 offset1:236
.LBB0_23:
	s_or_b64 exec, exec, s[2:3]
	v_and_b32_e32 v35, 3, v29
	v_mul_u32_u24_e32 v0, 3, v35
	v_lshlrev_b32_e32 v39, 3, v0
	global_load_dwordx2 v[42:43], v39, s[8:9] offset:16
	global_load_dwordx4 v[0:3], v39, s[8:9]
	s_movk_i32 s2, 0xf0
	s_movk_i32 s3, 0x1f0
	v_and_or_b32 v37, v37, s2, v35
	v_and_or_b32 v39, v38, s3, v35
	v_lshl_add_u32 v38, v37, 2, 0
	v_lshl_add_u32 v37, v39, 2, 0
	s_waitcnt lgkmcnt(0)
	; wave barrier
	s_waitcnt vmcnt(1) lgkmcnt(0)
	v_mul_f32_e32 v44, v24, v43
	v_mul_f32_e32 v45, v18, v43
	;; [unrolled: 1-line block ×6, first 2 shown]
	s_waitcnt vmcnt(0)
	v_mul_f32_e32 v43, v17, v1
	v_mul_f32_e32 v50, v26, v3
	;; [unrolled: 1-line block ×9, first 2 shown]
	v_fmac_f32_e32 v46, v18, v42
	v_fma_f32 v9, v9, v42, -v44
	v_fmac_f32_e32 v49, v15, v42
	v_fma_f32 v15, v22, v0, -v43
	v_fma_f32 v18, v11, v2, -v50
	v_fma_f32 v1, v36, v42, -v45
	v_fmac_f32_e32 v47, v24, v42
	v_fma_f32 v7, v7, v42, -v48
	v_fmac_f32_e32 v40, v17, v0
	v_fma_f32 v10, v10, v0, -v51
	;; [unrolled: 2-line block ×3, first 2 shown]
	v_fma_f32 v20, v20, v0, -v53
	v_fma_f32 v22, v6, v2, -v54
	v_fmac_f32_e32 v41, v13, v0
	v_sub_f32_e32 v0, v21, v18
	v_sub_f32_e32 v42, v15, v9
	;; [unrolled: 1-line block ×7, first 2 shown]
	v_fma_f32 v22, v21, 2.0, -v0
	v_fma_f32 v1, v15, 2.0, -v42
	v_sub_f32_e32 v43, v39, v46
	v_sub_f32_e32 v25, v41, v49
	;; [unrolled: 1-line block ×3, first 2 shown]
	v_fma_f32 v24, v33, 2.0, -v17
	v_fma_f32 v10, v10, 2.0, -v13
	;; [unrolled: 1-line block ×4, first 2 shown]
	v_sub_f32_e32 v20, v22, v1
	v_sub_f32_e32 v33, v17, v43
	;; [unrolled: 1-line block ×3, first 2 shown]
	v_fma_f32 v36, v0, 2.0, -v15
	v_sub_f32_e32 v10, v24, v10
	ds_write2_b32 v38, v20, v15 offset0:8 offset1:12
	v_fma_f32 v15, v22, 2.0, -v20
	v_fma_f32 v17, v17, 2.0, -v33
	v_sub_f32_e32 v1, v9, v19
	v_fma_f32 v0, v18, 2.0, -v21
	v_fma_f32 v18, v24, 2.0, -v10
	ds_write2_b32 v38, v15, v36 offset1:4
	ds_write2_b32 v37, v18, v17 offset1:4
	ds_write2_b32 v37, v10, v33 offset0:8 offset1:12
	v_lshlrev_b32_e32 v36, 2, v32
	s_and_saveexec_b64 s[2:3], s[0:1]
	s_cbranch_execz .LBB0_25
; %bb.24:
	s_movk_i32 s4, 0x3f0
	v_and_or_b32 v10, v36, s4, v35
	v_fma_f32 v9, v9, 2.0, -v1
	v_lshl_add_u32 v10, v10, 2, 0
	ds_write2_b32 v10, v9, v0 offset1:4
	ds_write2_b32 v10, v1, v21 offset0:8 offset1:12
.LBB0_25:
	s_or_b64 exec, exec, s[2:3]
	v_add_u32_e32 v15, 0x400, v31
	s_waitcnt lgkmcnt(0)
	; wave barrier
	s_waitcnt lgkmcnt(0)
	ds_read2_b32 v[19:20], v15 offset0:96 offset1:144
	v_add_u32_e32 v15, 0x200, v31
	ds_read2_b32 v[9:10], v31 offset1:176
	ds_read2_b32 v[17:18], v15 offset0:96 offset1:144
	v_lshl_add_u32 v15, v29, 2, 0
	ds_read_b32 v33, v31 offset:1792
	ds_read_b32 v24, v27
	ds_read_b32 v22, v15 offset:384
	v_cmp_gt_u32_e64 s[2:3], 32, v29
	s_and_saveexec_b64 s[4:5], s[2:3]
	s_cbranch_execz .LBB0_27
; %bb.26:
	v_add_u32_e32 v0, 0x200, v15
	ds_read2_b32 v[0:1], v0 offset0:16 offset1:192
	ds_read_b32 v21, v31 offset:1984
.LBB0_27:
	s_or_b64 exec, exec, s[4:5]
	v_mul_f32_e32 v11, v11, v3
	v_fmac_f32_e32 v11, v26, v2
	v_mul_f32_e32 v8, v8, v3
	v_mul_f32_e32 v3, v6, v3
	v_fmac_f32_e32 v8, v23, v2
	v_fmac_f32_e32 v3, v14, v2
	v_sub_f32_e32 v2, v16, v11
	v_fma_f32 v6, v16, 2.0, -v2
	v_fma_f32 v11, v40, 2.0, -v44
	v_add_f32_e32 v16, v2, v42
	v_sub_f32_e32 v11, v6, v11
	v_fma_f32 v23, v2, 2.0, -v16
	v_sub_f32_e32 v2, v34, v8
	v_fma_f32 v14, v6, 2.0, -v11
	v_fma_f32 v6, v34, 2.0, -v2
	;; [unrolled: 1-line block ×3, first 2 shown]
	v_add_f32_e32 v13, v2, v13
	v_sub_f32_e32 v26, v6, v8
	v_fma_f32 v39, v2, 2.0, -v13
	v_sub_f32_e32 v2, v12, v3
	v_fma_f32 v34, v6, 2.0, -v26
	v_fma_f32 v6, v12, 2.0, -v2
	;; [unrolled: 1-line block ×3, first 2 shown]
	v_add_f32_e32 v8, v2, v7
	v_sub_f32_e32 v3, v6, v3
	v_fma_f32 v2, v2, 2.0, -v8
	s_waitcnt lgkmcnt(0)
	; wave barrier
	s_waitcnt lgkmcnt(0)
	ds_write2_b32 v38, v14, v23 offset1:4
	ds_write2_b32 v38, v11, v16 offset0:8 offset1:12
	ds_write2_b32 v37, v34, v39 offset1:4
	ds_write2_b32 v37, v26, v13 offset0:8 offset1:12
	s_and_saveexec_b64 s[4:5], s[0:1]
	s_cbranch_execz .LBB0_29
; %bb.28:
	s_movk_i32 s0, 0x3f0
	v_and_or_b32 v7, v36, s0, v35
	v_fma_f32 v6, v6, 2.0, -v3
	v_lshl_add_u32 v7, v7, 2, 0
	ds_write2_b32 v7, v6, v2 offset1:4
	ds_write2_b32 v7, v3, v8 offset0:8 offset1:12
.LBB0_29:
	s_or_b64 exec, exec, s[4:5]
	v_add_u32_e32 v11, 0x400, v31
	s_waitcnt lgkmcnt(0)
	; wave barrier
	s_waitcnt lgkmcnt(0)
	ds_read2_b32 v[13:14], v11 offset0:96 offset1:144
	v_add_u32_e32 v11, 0x200, v31
	ds_read2_b32 v[6:7], v31 offset1:176
	ds_read2_b32 v[11:12], v11 offset0:96 offset1:144
	ds_read_b32 v26, v31 offset:1792
	ds_read_b32 v23, v27
	ds_read_b32 v16, v15 offset:384
	s_and_saveexec_b64 s[0:1], s[2:3]
	s_cbranch_execz .LBB0_31
; %bb.30:
	v_add_u32_e32 v2, 0x200, v15
	ds_read2_b32 v[2:3], v2 offset0:16 offset1:192
	ds_read_b32 v8, v31 offset:1984
.LBB0_31:
	s_or_b64 exec, exec, s[0:1]
	v_and_b32_e32 v25, 15, v29
	v_lshlrev_b32_e32 v34, 4, v25
	global_load_dwordx4 v[44:47], v34, s[8:9] offset:96
	v_lshrrev_b32_e32 v30, 4, v30
	v_mul_lo_u32 v35, v30, 48
	v_lshrrev_b32_e32 v34, 4, v29
	v_lshrrev_b32_e32 v32, 4, v32
	v_mul_u32_u24_e32 v34, 48, v34
	v_mul_u32_u24_e32 v30, 48, v32
	v_or_b32_e32 v32, v34, v25
	v_or_b32_e32 v34, v35, v25
	v_add_u32_e32 v48, 0x90, v29
	v_or_b32_e32 v30, v30, v25
	v_lshl_add_u32 v32, v32, 2, 0
	v_lshl_add_u32 v30, v30, 2, 0
	;; [unrolled: 1-line block ×3, first 2 shown]
	s_waitcnt lgkmcnt(0)
	; wave barrier
	s_waitcnt vmcnt(0) lgkmcnt(0)
	v_mul_f32_e32 v42, v19, v47
	v_mul_f32_e32 v50, v11, v45
	;; [unrolled: 1-line block ×10, first 2 shown]
	v_fma_f32 v20, v20, v46, -v51
	v_fmac_f32_e32 v42, v13, v46
	v_fma_f32 v13, v17, v44, -v50
	v_mul_f32_e32 v39, v17, v45
	v_mul_f32_e32 v38, v33, v47
	;; [unrolled: 1-line block ×5, first 2 shown]
	v_fma_f32 v43, v19, v46, -v43
	v_fmac_f32_e32 v40, v14, v46
	v_fma_f32 v14, v10, v44, -v49
	v_fmac_f32_e32 v41, v7, v44
	;; [unrolled: 2-line block ×3, first 2 shown]
	v_fma_f32 v10, v33, v46, -v53
	v_add_f32_e32 v12, v13, v20
	v_mul_f32_e32 v36, v21, v47
	v_fmac_f32_e32 v39, v11, v44
	v_fmac_f32_e32 v38, v26, v46
	;; [unrolled: 1-line block ×3, first 2 shown]
	v_fma_f32 v18, v21, v46, -v45
	v_add_f32_e32 v3, v14, v43
	v_add_f32_e32 v11, v24, v13
	;; [unrolled: 1-line block ×4, first 2 shown]
	v_fmac_f32_e32 v24, -0.5, v12
	v_fma_f32 v17, v1, v44, -v54
	v_fmac_f32_e32 v36, v8, v46
	v_add_f32_e32 v1, v9, v14
	v_sub_f32_e32 v8, v41, v42
	v_sub_f32_e32 v19, v39, v40
	v_fmac_f32_e32 v9, -0.5, v3
	v_add_f32_e32 v3, v11, v20
	v_add_f32_e32 v11, v21, v10
	v_fmac_f32_e32 v22, -0.5, v26
	v_mov_b32_e32 v21, v24
	v_sub_f32_e32 v33, v37, v38
	v_mov_b32_e32 v12, v9
	v_fmac_f32_e32 v9, 0xbf5db3d7, v8
	v_fmac_f32_e32 v24, 0xbf5db3d7, v19
	v_mov_b32_e32 v26, v22
	v_fmac_f32_e32 v21, 0x3f5db3d7, v19
	v_lshrrev_b32_e32 v19, 4, v48
	v_add_f32_e32 v1, v1, v43
	v_fmac_f32_e32 v22, 0xbf5db3d7, v33
	v_fmac_f32_e32 v12, 0x3f5db3d7, v8
	;; [unrolled: 1-line block ×3, first 2 shown]
	ds_write_b32 v32, v9 offset:128
	ds_write2_b32 v32, v1, v12 offset1:16
	ds_write2_b32 v34, v3, v21 offset1:16
	ds_write_b32 v34, v24 offset:128
	ds_write2_b32 v30, v11, v26 offset1:16
	ds_write_b32 v30, v22 offset:128
	s_and_saveexec_b64 s[0:1], s[2:3]
	s_cbranch_execz .LBB0_33
; %bb.32:
	v_mul_u32_u24_e32 v1, 48, v19
	v_add_f32_e32 v3, v17, v18
	v_or_b32_e32 v1, v1, v25
	v_fma_f32 v3, -0.5, v3, v0
	v_sub_f32_e32 v8, v35, v36
	v_add_f32_e32 v0, v0, v17
	v_lshl_add_u32 v1, v1, 2, 0
	v_mov_b32_e32 v9, v3
	v_fmac_f32_e32 v3, 0x3f5db3d7, v8
	v_add_f32_e32 v0, v0, v18
	v_fmac_f32_e32 v9, 0xbf5db3d7, v8
	ds_write2_b32 v1, v0, v3 offset1:16
	ds_write_b32 v1, v9 offset:128
.LBB0_33:
	s_or_b64 exec, exec, s[0:1]
	v_add_f32_e32 v0, v6, v41
	v_add_f32_e32 v21, v0, v42
	v_add_f32_e32 v0, v41, v42
	v_fmac_f32_e32 v6, -0.5, v0
	v_sub_f32_e32 v0, v14, v43
	v_mov_b32_e32 v22, v6
	v_fmac_f32_e32 v22, 0xbf5db3d7, v0
	v_fmac_f32_e32 v6, 0x3f5db3d7, v0
	v_add_f32_e32 v0, v23, v39
	v_add_f32_e32 v24, v0, v40
	v_add_f32_e32 v0, v39, v40
	v_fmac_f32_e32 v23, -0.5, v0
	v_sub_f32_e32 v0, v13, v20
	v_mov_b32_e32 v20, v23
	v_fmac_f32_e32 v20, 0xbf5db3d7, v0
	v_fmac_f32_e32 v23, 0x3f5db3d7, v0
	;; [unrolled: 8-line block ×3, first 2 shown]
	s_waitcnt lgkmcnt(0)
	; wave barrier
	s_waitcnt lgkmcnt(0)
	ds_read2st64_b32 v[0:1], v31 offset1:3
	ds_read_b32 v3, v27
	ds_read2_b32 v[11:12], v15 offset0:96 offset1:144
	v_add_u32_e32 v7, 0x200, v31
	v_add_u32_e32 v13, 0x400, v31
	ds_read2_b32 v[7:8], v7 offset0:112 offset1:160
	ds_read2_b32 v[9:10], v13 offset0:80 offset1:128
	;; [unrolled: 1-line block ×3, first 2 shown]
	s_waitcnt lgkmcnt(0)
	; wave barrier
	s_waitcnt lgkmcnt(0)
	ds_write2_b32 v32, v21, v22 offset1:16
	ds_write_b32 v32, v6 offset:128
	ds_write2_b32 v34, v24, v20 offset1:16
	ds_write_b32 v34, v23 offset:128
	;; [unrolled: 2-line block ×3, first 2 shown]
	s_and_saveexec_b64 s[0:1], s[2:3]
	s_cbranch_execz .LBB0_35
; %bb.34:
	v_add_f32_e32 v16, v35, v36
	v_add_f32_e32 v6, v2, v35
	v_fmac_f32_e32 v2, -0.5, v16
	v_sub_f32_e32 v16, v17, v18
	v_mov_b32_e32 v17, v2
	v_fmac_f32_e32 v17, 0xbf5db3d7, v16
	v_fmac_f32_e32 v2, 0x3f5db3d7, v16
	v_mul_u32_u24_e32 v16, 48, v19
	v_or_b32_e32 v16, v16, v25
	v_add_f32_e32 v6, v6, v36
	v_lshl_add_u32 v16, v16, 2, 0
	ds_write2_b32 v16, v6, v17 offset1:16
	ds_write_b32 v16, v2 offset:128
.LBB0_35:
	s_or_b64 exec, exec, s[0:1]
	s_waitcnt lgkmcnt(0)
	; wave barrier
	s_waitcnt lgkmcnt(0)
	s_and_saveexec_b64 s[0:1], vcc
	s_cbranch_execz .LBB0_37
; %bb.36:
	v_mul_u32_u24_e32 v2, 10, v29
	v_lshlrev_b32_e32 v2, 3, v2
	global_load_dwordx4 v[16:19], v2, s[8:9] offset:416
	global_load_dwordx4 v[20:23], v2, s[8:9] offset:352
	;; [unrolled: 1-line block ×5, first 2 shown]
	v_add_u32_e32 v2, 0x400, v31
	ds_read_b32 v6, v27
	ds_read2st64_b32 v[24:25], v31 offset1:3
	ds_read2_b32 v[26:27], v15 offset0:96 offset1:144
	v_add_u32_e32 v15, 0x200, v31
	ds_read2_b32 v[29:30], v2 offset0:176 offset1:224
	ds_read2_b32 v[44:45], v2 offset0:80 offset1:128
	;; [unrolled: 1-line block ×3, first 2 shown]
	s_mov_b32 s1, 0xbf75a155
	s_mov_b32 s0, 0x3f575c64
	;; [unrolled: 1-line block ×5, first 2 shown]
	s_waitcnt vmcnt(4)
	v_mul_f32_e32 v31, v14, v19
	s_waitcnt vmcnt(3)
	v_mul_f32_e32 v48, v3, v21
	s_waitcnt lgkmcnt(2)
	v_mul_f32_e32 v15, v30, v19
	v_mul_f32_e32 v49, v13, v17
	;; [unrolled: 1-line block ×4, first 2 shown]
	s_waitcnt vmcnt(2)
	v_mul_f32_e32 v23, v10, v35
	s_waitcnt lgkmcnt(1)
	v_mul_f32_e32 v35, v45, v35
	v_fmac_f32_e32 v48, v6, v20
	v_fmac_f32_e32 v31, v30, v18
	v_mul_f32_e32 v2, v6, v21
	s_waitcnt vmcnt(1)
	v_mul_f32_e32 v51, v12, v37
	v_mul_f32_e32 v21, v27, v37
	s_waitcnt vmcnt(0)
	v_mul_f32_e32 v54, v7, v41
	v_fmac_f32_e32 v50, v26, v22
	v_fmac_f32_e32 v49, v29, v16
	v_fma_f32 v30, v10, v34, -v35
	v_add_f32_e32 v35, v31, v48
	v_mul_f32_e32 v17, v29, v17
	v_mul_f32_e32 v37, v9, v33
	;; [unrolled: 1-line block ×5, first 2 shown]
	s_waitcnt lgkmcnt(0)
	v_mul_f32_e32 v41, v46, v41
	v_fma_f32 v3, v3, v20, -v2
	v_fma_f32 v26, v14, v18, -v15
	v_fmac_f32_e32 v23, v45, v34
	v_fmac_f32_e32 v51, v27, v36
	v_fma_f32 v27, v12, v36, -v21
	v_fmac_f32_e32 v54, v46, v40
	v_add_f32_e32 v36, v49, v50
	v_mul_f32_e32 v46, 0x3f575c64, v35
	v_mul_f32_e32 v33, v44, v33
	;; [unrolled: 1-line block ×3, first 2 shown]
	v_fma_f32 v22, v11, v22, -v19
	v_fma_f32 v29, v13, v16, -v17
	v_fmac_f32_e32 v37, v44, v32
	v_fmac_f32_e32 v52, v25, v38
	v_fma_f32 v25, v1, v38, -v39
	v_fmac_f32_e32 v53, v47, v42
	v_sub_f32_e32 v20, v3, v26
	v_add_f32_e32 v38, v23, v51
	v_mul_f32_e32 v47, 0x3ed4b147, v36
	v_mov_b32_e32 v1, v46
	v_fma_f32 v32, v9, v32, -v33
	v_fma_f32 v33, v7, v40, -v41
	v_sub_f32_e32 v21, v22, v29
	v_add_f32_e32 v40, v37, v52
	v_mul_f32_e32 v55, 0xbe11bafb, v38
	v_mov_b32_e32 v2, v47
	v_fmac_f32_e32 v1, 0x3f0a6770, v20
	v_fma_f32 v34, v8, v42, -v43
	v_sub_f32_e32 v39, v27, v30
	v_add_f32_e32 v42, v53, v54
	v_mul_f32_e32 v56, 0xbf27a4f4, v40
	v_mov_b32_e32 v6, v55
	v_fmac_f32_e32 v2, 0x3f68dda4, v21
	v_add_f32_e32 v1, v24, v1
	v_sub_f32_e32 v41, v25, v32
	v_sub_f32_e32 v14, v48, v31
	v_mul_f32_e32 v57, 0xbf75a155, v42
	v_mov_b32_e32 v7, v56
	v_fmac_f32_e32 v6, 0x3f7d64f0, v39
	v_add_f32_e32 v1, v1, v2
	v_sub_f32_e32 v43, v33, v34
	v_sub_f32_e32 v15, v50, v49
	v_mul_f32_e32 v58, 0xbf0a6770, v14
	v_mov_b32_e32 v8, v57
	v_fmac_f32_e32 v7, 0x3f4178ce, v41
	v_add_f32_e32 v1, v1, v6
	v_add_f32_e32 v44, v26, v3
	v_mov_b32_e32 v9, v58
	v_fmac_f32_e32 v8, 0x3e903f40, v43
	v_add_f32_e32 v1, v1, v7
	v_mul_f32_e32 v59, 0xbf68dda4, v15
	v_sub_f32_e32 v16, v51, v23
	v_add_f32_e32 v45, v29, v22
	v_fmac_f32_e32 v9, 0x3f575c64, v44
	v_add_f32_e32 v2, v1, v8
	v_mov_b32_e32 v1, v59
	v_mul_f32_e32 v61, 0xbf7d64f0, v16
	v_add_f32_e32 v9, v0, v9
	v_fmac_f32_e32 v1, 0x3ed4b147, v45
	v_add_f32_e32 v60, v30, v27
	v_mov_b32_e32 v6, v61
	v_sub_f32_e32 v17, v52, v37
	v_add_f32_e32 v1, v9, v1
	v_fmac_f32_e32 v6, 0xbe11bafb, v60
	v_mul_f32_e32 v63, 0xbf4178ce, v17
	v_add_f32_e32 v1, v1, v6
	v_add_f32_e32 v62, v32, v25
	v_mov_b32_e32 v6, v63
	v_sub_f32_e32 v18, v54, v53
	v_fmac_f32_e32 v6, 0xbf27a4f4, v62
	v_mul_f32_e32 v65, 0xbe903f40, v18
	v_add_f32_e32 v1, v1, v6
	v_add_f32_e32 v64, v34, v33
	v_mov_b32_e32 v6, v65
	v_fmac_f32_e32 v6, 0xbf75a155, v64
	v_mul_f32_e32 v19, 0x3ed4b147, v35
	v_add_f32_e32 v1, v1, v6
	v_mov_b32_e32 v6, v19
	v_mul_f32_e32 v66, 0xbf27a4f4, v36
	v_fmac_f32_e32 v6, 0x3f68dda4, v20
	v_mov_b32_e32 v7, v66
	v_add_f32_e32 v6, v24, v6
	v_fmac_f32_e32 v7, 0x3f4178ce, v21
	v_mul_f32_e32 v67, 0xbf75a155, v38
	v_add_f32_e32 v6, v6, v7
	v_mov_b32_e32 v7, v67
	v_fmac_f32_e32 v7, 0xbe903f40, v39
	v_mul_f32_e32 v68, 0xbe11bafb, v40
	v_add_f32_e32 v6, v6, v7
	v_mov_b32_e32 v7, v68
	;; [unrolled: 4-line block ×3, first 2 shown]
	v_mul_f32_e32 v70, 0xbf4178ce, v15
	v_fmac_f32_e32 v7, 0x3ed4b147, v44
	v_mov_b32_e32 v8, v70
	v_add_f32_e32 v7, v0, v7
	v_fmac_f32_e32 v8, 0xbf27a4f4, v45
	v_mul_f32_e32 v71, 0x3e903f40, v16
	v_add_f32_e32 v7, v7, v8
	v_mov_b32_e32 v8, v71
	v_fmac_f32_e32 v8, 0xbf75a155, v60
	v_mul_f32_e32 v72, 0x3f7d64f0, v17
	v_add_f32_e32 v7, v7, v8
	v_mov_b32_e32 v8, v72
	;; [unrolled: 4-line block ×5, first 2 shown]
	v_mul_f32_e32 v76, 0xbf75a155, v36
	v_fmac_f32_e32 v8, 0x3f7d64f0, v20
	v_mov_b32_e32 v9, v76
	v_add_f32_e32 v8, v24, v8
	v_fmac_f32_e32 v9, 0xbe903f40, v21
	v_mul_f32_e32 v77, 0x3ed4b147, v38
	v_add_f32_e32 v8, v8, v9
	v_mov_b32_e32 v9, v77
	v_fmac_f32_e32 v9, 0xbf68dda4, v39
	v_mul_f32_e32 v78, 0x3f575c64, v40
	v_add_f32_e32 v8, v8, v9
	v_mov_b32_e32 v9, v78
	;; [unrolled: 4-line block ×3, first 2 shown]
	v_mul_f32_e32 v80, 0x3e903f40, v15
	v_fmac_f32_e32 v9, 0xbe11bafb, v44
	v_mov_b32_e32 v10, v80
	v_add_f32_e32 v9, v0, v9
	v_fmac_f32_e32 v10, 0xbf75a155, v45
	v_mul_f32_e32 v81, 0x3f68dda4, v16
	v_add_f32_e32 v9, v9, v10
	v_mov_b32_e32 v10, v81
	v_fmac_f32_e32 v10, 0x3ed4b147, v60
	v_mul_f32_e32 v82, 0xbf0a6770, v17
	v_add_f32_e32 v9, v9, v10
	v_mov_b32_e32 v10, v82
	;; [unrolled: 4-line block ×5, first 2 shown]
	v_mul_f32_e32 v13, 0x3f575c64, v36
	v_fmac_f32_e32 v10, 0x3e903f40, v20
	v_mov_b32_e32 v11, v13
	v_add_f32_e32 v10, v24, v10
	v_fmac_f32_e32 v11, 0xbf0a6770, v21
	v_mul_f32_e32 v85, 0xbf27a4f4, v38
	v_add_f32_e32 v10, v10, v11
	v_mov_b32_e32 v11, v85
	v_fmac_f32_e32 v11, 0x3f4178ce, v39
	v_mul_f32_e32 v86, 0x3ed4b147, v40
	v_add_f32_e32 v10, v10, v11
	v_mov_b32_e32 v11, v86
	;; [unrolled: 4-line block ×3, first 2 shown]
	v_mul_f32_e32 v88, 0x3f0a6770, v15
	v_fmac_f32_e32 v11, 0xbf75a155, v44
	v_mov_b32_e32 v89, v88
	v_add_f32_e32 v11, v0, v11
	v_fmac_f32_e32 v89, 0x3f575c64, v45
	v_add_f32_e32 v11, v11, v89
	v_mul_f32_e32 v89, 0xbf4178ce, v16
	v_mov_b32_e32 v90, v89
	v_fmac_f32_e32 v12, 0xbe903f40, v20
	v_fmac_f32_e32 v90, 0xbf27a4f4, v60
	v_add_f32_e32 v12, v24, v12
	v_fmac_f32_e32 v13, 0x3f0a6770, v21
	v_add_f32_e32 v11, v11, v90
	v_mul_f32_e32 v90, 0x3f68dda4, v17
	v_add_f32_e32 v12, v12, v13
	v_fmac_f32_e32 v85, 0xbf4178ce, v39
	v_fma_f32 v13, v44, s1, -v87
	v_mov_b32_e32 v91, v90
	v_add_f32_e32 v12, v12, v85
	v_add_f32_e32 v13, v0, v13
	v_fma_f32 v85, v45, s0, -v88
	v_fmac_f32_e32 v91, 0x3ed4b147, v62
	v_mul_f32_e32 v92, 0xbe11bafb, v42
	v_fmac_f32_e32 v86, 0x3f68dda4, v41
	v_add_f32_e32 v13, v13, v85
	v_fma_f32 v85, v60, s2, -v89
	v_add_f32_e32 v91, v11, v91
	v_mov_b32_e32 v11, v92
	v_mul_f32_e32 v93, 0xbf7d64f0, v18
	v_add_f32_e32 v12, v12, v86
	v_add_f32_e32 v13, v13, v85
	v_fma_f32 v85, v62, s3, -v90
	v_fmac_f32_e32 v92, 0xbf7d64f0, v43
	v_add_f32_e32 v85, v13, v85
	v_add_f32_e32 v13, v12, v92
	v_fma_f32 v12, v64, s4, -v93
	v_add_f32_e32 v12, v85, v12
	v_mul_f32_e32 v85, 0xbf4178ce, v20
	v_mov_b32_e32 v86, v85
	v_mul_f32_e32 v87, 0x3f7d64f0, v21
	v_fmac_f32_e32 v86, 0xbf27a4f4, v35
	v_mov_b32_e32 v88, v87
	v_add_f32_e32 v86, v24, v86
	v_fmac_f32_e32 v88, 0xbe11bafb, v36
	v_add_f32_e32 v86, v86, v88
	v_mul_f32_e32 v88, 0xbf0a6770, v39
	v_mov_b32_e32 v89, v88
	v_fmac_f32_e32 v89, 0x3f575c64, v38
	v_add_f32_e32 v86, v86, v89
	v_mul_f32_e32 v89, 0xbe903f40, v41
	v_fmac_f32_e32 v11, 0x3f7d64f0, v43
	v_mov_b32_e32 v90, v89
	v_add_f32_e32 v11, v10, v11
	v_mov_b32_e32 v10, v93
	v_fmac_f32_e32 v90, 0xbf75a155, v40
	v_fmac_f32_e32 v10, 0xbe11bafb, v64
	v_add_f32_e32 v86, v86, v90
	v_mul_f32_e32 v90, 0xbf4178ce, v14
	v_add_f32_e32 v10, v91, v10
	v_fma_f32 v14, v44, s2, -v90
	v_mul_f32_e32 v91, 0x3f7d64f0, v15
	v_add_f32_e32 v14, v0, v14
	v_fma_f32 v15, v45, s4, -v91
	;; [unrolled: 3-line block ×4, first 2 shown]
	v_mul_f32_e32 v94, 0x3f68dda4, v43
	v_add_f32_e32 v14, v14, v15
	v_mov_b32_e32 v15, v94
	v_fmac_f32_e32 v15, 0x3ed4b147, v42
	v_add_f32_e32 v3, v0, v3
	v_add_f32_e32 v15, v86, v15
	v_mul_f32_e32 v86, 0x3f68dda4, v18
	v_add_f32_e32 v3, v3, v22
	v_fma_f32 v16, v64, s3, -v86
	v_fmac_f32_e32 v75, 0xbf7d64f0, v20
	v_add_f32_e32 v3, v3, v27
	v_add_f32_e32 v14, v14, v16
	;; [unrolled: 1-line block ×3, first 2 shown]
	v_fmac_f32_e32 v76, 0x3e903f40, v21
	v_fma_f32 v17, v44, s4, -v79
	v_add_f32_e32 v3, v3, v25
	v_add_f32_e32 v16, v16, v76
	v_fmac_f32_e32 v77, 0x3f68dda4, v39
	v_add_f32_e32 v17, v0, v17
	v_fma_f32 v18, v45, s1, -v80
	v_fmac_f32_e32 v46, 0xbf0a6770, v20
	v_add_f32_e32 v3, v3, v33
	v_add_f32_e32 v16, v16, v77
	v_fmac_f32_e32 v78, 0xbf0a6770, v41
	v_add_f32_e32 v17, v17, v18
	v_fma_f32 v18, v60, s3, -v81
	v_fmac_f32_e32 v19, 0xbf68dda4, v20
	v_fmac_f32_e32 v66, 0xbf4178ce, v21
	;; [unrolled: 1-line block ×3, first 2 shown]
	v_add_f32_e32 v20, v24, v46
	v_fma_f32 v21, v44, s0, -v58
	v_add_f32_e32 v3, v34, v3
	v_add_f32_e32 v16, v16, v78
	;; [unrolled: 1-line block ×3, first 2 shown]
	v_fma_f32 v18, v62, s0, -v82
	v_fmac_f32_e32 v83, 0xbf4178ce, v43
	v_fmac_f32_e32 v67, 0x3e903f40, v39
	v_add_f32_e32 v20, v20, v47
	v_fmac_f32_e32 v55, 0xbf7d64f0, v39
	v_add_f32_e32 v21, v0, v21
	v_fma_f32 v39, v45, s3, -v59
	v_add_f32_e32 v3, v32, v3
	v_add_f32_e32 v18, v17, v18
	v_add_f32_e32 v17, v16, v83
	v_fma_f32 v16, v64, s2, -v84
	v_add_f32_e32 v20, v20, v55
	v_fmac_f32_e32 v56, 0xbf4178ce, v41
	v_add_f32_e32 v21, v21, v39
	v_fma_f32 v39, v60, s4, -v61
	v_add_f32_e32 v3, v30, v3
	v_add_f32_e32 v16, v18, v16
	v_add_f32_e32 v18, v24, v19
	v_fma_f32 v19, v44, s3, -v69
	;; [unrolled: 8-line block ×3, first 2 shown]
	v_add_f32_e32 v39, v21, v39
	v_add_f32_e32 v21, v20, v57
	v_fma_f32 v20, v64, s1, -v65
	v_add_f32_e32 v22, v26, v3
	v_fma_f32 v3, v35, s2, -v85
	v_add_f32_e32 v18, v18, v67
	v_fmac_f32_e32 v68, 0x3f7d64f0, v41
	v_add_f32_e32 v19, v19, v66
	v_fma_f32 v66, v60, s1, -v71
	v_add_f32_e32 v20, v39, v20
	v_add_f32_e32 v39, v24, v48
	;; [unrolled: 1-line block ×3, first 2 shown]
	v_fma_f32 v24, v36, s4, -v87
	v_add_f32_e32 v18, v18, v68
	v_add_f32_e32 v19, v19, v66
	v_fma_f32 v66, v62, s4, -v72
	v_fmac_f32_e32 v73, 0x3f0a6770, v43
	v_add_f32_e32 v3, v3, v24
	v_fma_f32 v24, v38, s0, -v88
	v_add_f32_e32 v66, v19, v66
	v_add_f32_e32 v19, v18, v73
	v_fma_f32 v18, v64, s0, -v74
	v_add_f32_e32 v3, v3, v24
	v_fma_f32 v24, v40, s1, -v89
	v_mad_u64_u32 v[26:27], s[0:1], s12, v28, 0
	v_fmac_f32_e32 v90, 0xbf27a4f4, v44
	v_add_f32_e32 v0, v0, v90
	v_fmac_f32_e32 v91, 0xbe11bafb, v45
	v_add_f32_e32 v3, v3, v24
	v_fma_f32 v24, v42, s3, -v94
	v_add_f32_e32 v0, v0, v91
	v_fmac_f32_e32 v92, 0x3f575c64, v60
	v_add_f32_e32 v25, v3, v24
	v_add_f32_e32 v3, v0, v92
	v_mov_b32_e32 v0, v27
	v_mad_u64_u32 v[29:30], s[0:1], s13, v28, v[0:1]
	v_add_f32_e32 v39, v39, v50
	v_add_f32_e32 v39, v39, v51
	v_fmac_f32_e32 v93, 0xbf75a155, v62
	v_mov_b32_e32 v27, v29
	v_add_u32_e32 v29, 48, v28
	v_add_f32_e32 v39, v39, v52
	v_add_f32_e32 v0, v3, v93
	v_add_co_u32_e32 v32, vcc, s14, v4
	v_lshlrev_b64 v[3:4], 3, v[26:27]
	v_mad_u64_u32 v[26:27], s[0:1], s12, v29, 0
	v_add_f32_e32 v39, v39, v54
	v_add_f32_e32 v39, v53, v39
	v_fmac_f32_e32 v86, 0x3ed4b147, v64
	v_add_f32_e32 v37, v37, v39
	v_add_f32_e32 v24, v0, v86
	v_mov_b32_e32 v0, s15
	v_add_f32_e32 v23, v23, v37
	v_addc_co_u32_e32 v5, vcc, v0, v5, vcc
	v_mov_b32_e32 v0, v27
	v_add_f32_e32 v23, v49, v23
	v_mad_u64_u32 v[29:30], s[0:1], s13, v29, v[0:1]
	v_add_u32_e32 v33, 0x60, v28
	v_add_f32_e32 v23, v31, v23
	v_mad_u64_u32 v[30:31], s[0:1], s12, v33, 0
	v_add_co_u32_e32 v3, vcc, v32, v3
	v_addc_co_u32_e32 v4, vcc, v5, v4, vcc
	v_mov_b32_e32 v0, v31
	global_store_dwordx2 v[3:4], v[22:23], off
	v_mov_b32_e32 v27, v29
	v_mad_u64_u32 v[22:23], s[0:1], s13, v33, v[0:1]
	v_lshlrev_b64 v[3:4], 3, v[26:27]
	v_or_b32_e32 v26, 0xc0, v28
	v_add_co_u32_e32 v3, vcc, v32, v3
	v_addc_co_u32_e32 v4, vcc, v5, v4, vcc
	v_mov_b32_e32 v31, v22
	v_add_u32_e32 v22, 0x90, v28
	global_store_dwordx2 v[3:4], v[20:21], off
	v_mad_u64_u32 v[20:21], s[0:1], s12, v22, 0
	v_lshlrev_b64 v[3:4], 3, v[30:31]
	v_add_f32_e32 v18, v66, v18
	v_mov_b32_e32 v0, v21
	v_mad_u64_u32 v[21:22], s[0:1], s13, v22, v[0:1]
	v_mad_u64_u32 v[22:23], s[0:1], s12, v26, 0
	v_add_co_u32_e32 v3, vcc, v32, v3
	v_addc_co_u32_e32 v4, vcc, v5, v4, vcc
	v_mov_b32_e32 v0, v23
	global_store_dwordx2 v[3:4], v[18:19], off
	v_mad_u64_u32 v[18:19], s[0:1], s13, v26, v[0:1]
	v_lshlrev_b64 v[3:4], 3, v[20:21]
	v_add_u32_e32 v20, 0x120, v28
	v_add_co_u32_e32 v3, vcc, v32, v3
	v_addc_co_u32_e32 v4, vcc, v5, v4, vcc
	v_mov_b32_e32 v23, v18
	v_add_u32_e32 v18, 0xf0, v28
	global_store_dwordx2 v[3:4], v[16:17], off
	v_mad_u64_u32 v[16:17], s[0:1], s12, v18, 0
	v_lshlrev_b64 v[3:4], 3, v[22:23]
	v_mov_b32_e32 v0, v17
	v_mad_u64_u32 v[17:18], s[0:1], s13, v18, v[0:1]
	v_mad_u64_u32 v[18:19], s[0:1], s12, v20, 0
	v_add_co_u32_e32 v3, vcc, v32, v3
	v_addc_co_u32_e32 v4, vcc, v5, v4, vcc
	v_mov_b32_e32 v0, v19
	global_store_dwordx2 v[3:4], v[14:15], off
	v_mad_u64_u32 v[14:15], s[0:1], s13, v20, v[0:1]
	v_lshlrev_b64 v[3:4], 3, v[16:17]
	v_or_b32_e32 v16, 0x180, v28
	v_add_co_u32_e32 v3, vcc, v32, v3
	v_addc_co_u32_e32 v4, vcc, v5, v4, vcc
	v_mov_b32_e32 v19, v14
	v_add_u32_e32 v14, 0x150, v28
	global_store_dwordx2 v[3:4], v[12:13], off
	v_mad_u64_u32 v[12:13], s[0:1], s12, v14, 0
	v_lshlrev_b64 v[3:4], 3, v[18:19]
	v_mov_b32_e32 v0, v13
	v_mad_u64_u32 v[13:14], s[0:1], s13, v14, v[0:1]
	v_mad_u64_u32 v[14:15], s[0:1], s12, v16, 0
	v_add_co_u32_e32 v3, vcc, v32, v3
	v_addc_co_u32_e32 v4, vcc, v5, v4, vcc
	v_mov_b32_e32 v0, v15
	global_store_dwordx2 v[3:4], v[10:11], off
	v_mad_u64_u32 v[10:11], s[0:1], s13, v16, v[0:1]
	v_lshlrev_b64 v[3:4], 3, v[12:13]
	v_add_u32_e32 v12, 0x1b0, v28
	v_mov_b32_e32 v15, v10
	v_mad_u64_u32 v[10:11], s[0:1], s12, v12, 0
	v_add_co_u32_e32 v3, vcc, v32, v3
	v_addc_co_u32_e32 v4, vcc, v5, v4, vcc
	v_mov_b32_e32 v0, v11
	global_store_dwordx2 v[3:4], v[24:25], off
	v_lshlrev_b64 v[3:4], 3, v[14:15]
	v_mad_u64_u32 v[11:12], s[0:1], s13, v12, v[0:1]
	v_add_u32_e32 v14, 0x1e0, v28
	v_mad_u64_u32 v[12:13], s[0:1], s12, v14, 0
	v_add_co_u32_e32 v3, vcc, v32, v3
	v_addc_co_u32_e32 v4, vcc, v5, v4, vcc
	v_mov_b32_e32 v0, v13
	global_store_dwordx2 v[3:4], v[8:9], off
	v_mad_u64_u32 v[8:9], s[0:1], s13, v14, v[0:1]
	v_lshlrev_b64 v[3:4], 3, v[10:11]
	v_add_co_u32_e32 v3, vcc, v32, v3
	v_addc_co_u32_e32 v4, vcc, v5, v4, vcc
	v_mov_b32_e32 v13, v8
	global_store_dwordx2 v[3:4], v[6:7], off
	v_lshlrev_b64 v[3:4], 3, v[12:13]
	v_add_co_u32_e32 v3, vcc, v32, v3
	v_addc_co_u32_e32 v4, vcc, v5, v4, vcc
	global_store_dwordx2 v[3:4], v[1:2], off
.LBB0_37:
	s_endpgm
	.section	.rodata,"a",@progbits
	.p2align	6, 0x0
	.amdhsa_kernel fft_rtc_fwd_len528_factors_4_4_3_11_wgs_48_tpt_48_halfLds_sp_ip_CI_sbrr_dirReg
		.amdhsa_group_segment_fixed_size 0
		.amdhsa_private_segment_fixed_size 0
		.amdhsa_kernarg_size 88
		.amdhsa_user_sgpr_count 6
		.amdhsa_user_sgpr_private_segment_buffer 1
		.amdhsa_user_sgpr_dispatch_ptr 0
		.amdhsa_user_sgpr_queue_ptr 0
		.amdhsa_user_sgpr_kernarg_segment_ptr 1
		.amdhsa_user_sgpr_dispatch_id 0
		.amdhsa_user_sgpr_flat_scratch_init 0
		.amdhsa_user_sgpr_private_segment_size 0
		.amdhsa_uses_dynamic_stack 0
		.amdhsa_system_sgpr_private_segment_wavefront_offset 0
		.amdhsa_system_sgpr_workgroup_id_x 1
		.amdhsa_system_sgpr_workgroup_id_y 0
		.amdhsa_system_sgpr_workgroup_id_z 0
		.amdhsa_system_sgpr_workgroup_info 0
		.amdhsa_system_vgpr_workitem_id 0
		.amdhsa_next_free_vgpr 95
		.amdhsa_next_free_sgpr 24
		.amdhsa_reserve_vcc 1
		.amdhsa_reserve_flat_scratch 0
		.amdhsa_float_round_mode_32 0
		.amdhsa_float_round_mode_16_64 0
		.amdhsa_float_denorm_mode_32 3
		.amdhsa_float_denorm_mode_16_64 3
		.amdhsa_dx10_clamp 1
		.amdhsa_ieee_mode 1
		.amdhsa_fp16_overflow 0
		.amdhsa_exception_fp_ieee_invalid_op 0
		.amdhsa_exception_fp_denorm_src 0
		.amdhsa_exception_fp_ieee_div_zero 0
		.amdhsa_exception_fp_ieee_overflow 0
		.amdhsa_exception_fp_ieee_underflow 0
		.amdhsa_exception_fp_ieee_inexact 0
		.amdhsa_exception_int_div_zero 0
	.end_amdhsa_kernel
	.text
.Lfunc_end0:
	.size	fft_rtc_fwd_len528_factors_4_4_3_11_wgs_48_tpt_48_halfLds_sp_ip_CI_sbrr_dirReg, .Lfunc_end0-fft_rtc_fwd_len528_factors_4_4_3_11_wgs_48_tpt_48_halfLds_sp_ip_CI_sbrr_dirReg
                                        ; -- End function
	.section	.AMDGPU.csdata,"",@progbits
; Kernel info:
; codeLenInByte = 7384
; NumSgprs: 28
; NumVgprs: 95
; ScratchSize: 0
; MemoryBound: 0
; FloatMode: 240
; IeeeMode: 1
; LDSByteSize: 0 bytes/workgroup (compile time only)
; SGPRBlocks: 3
; VGPRBlocks: 23
; NumSGPRsForWavesPerEU: 28
; NumVGPRsForWavesPerEU: 95
; Occupancy: 2
; WaveLimiterHint : 1
; COMPUTE_PGM_RSRC2:SCRATCH_EN: 0
; COMPUTE_PGM_RSRC2:USER_SGPR: 6
; COMPUTE_PGM_RSRC2:TRAP_HANDLER: 0
; COMPUTE_PGM_RSRC2:TGID_X_EN: 1
; COMPUTE_PGM_RSRC2:TGID_Y_EN: 0
; COMPUTE_PGM_RSRC2:TGID_Z_EN: 0
; COMPUTE_PGM_RSRC2:TIDIG_COMP_CNT: 0
	.type	__hip_cuid_862cfdfb6c6dec75,@object ; @__hip_cuid_862cfdfb6c6dec75
	.section	.bss,"aw",@nobits
	.globl	__hip_cuid_862cfdfb6c6dec75
__hip_cuid_862cfdfb6c6dec75:
	.byte	0                               ; 0x0
	.size	__hip_cuid_862cfdfb6c6dec75, 1

	.ident	"AMD clang version 19.0.0git (https://github.com/RadeonOpenCompute/llvm-project roc-6.4.0 25133 c7fe45cf4b819c5991fe208aaa96edf142730f1d)"
	.section	".note.GNU-stack","",@progbits
	.addrsig
	.addrsig_sym __hip_cuid_862cfdfb6c6dec75
	.amdgpu_metadata
---
amdhsa.kernels:
  - .args:
      - .actual_access:  read_only
        .address_space:  global
        .offset:         0
        .size:           8
        .value_kind:     global_buffer
      - .offset:         8
        .size:           8
        .value_kind:     by_value
      - .actual_access:  read_only
        .address_space:  global
        .offset:         16
        .size:           8
        .value_kind:     global_buffer
      - .actual_access:  read_only
        .address_space:  global
        .offset:         24
        .size:           8
        .value_kind:     global_buffer
      - .offset:         32
        .size:           8
        .value_kind:     by_value
      - .actual_access:  read_only
        .address_space:  global
        .offset:         40
        .size:           8
        .value_kind:     global_buffer
      - .actual_access:  read_only
        .address_space:  global
        .offset:         48
        .size:           8
        .value_kind:     global_buffer
      - .offset:         56
        .size:           4
        .value_kind:     by_value
      - .actual_access:  read_only
        .address_space:  global
        .offset:         64
        .size:           8
        .value_kind:     global_buffer
      - .actual_access:  read_only
        .address_space:  global
        .offset:         72
        .size:           8
        .value_kind:     global_buffer
      - .address_space:  global
        .offset:         80
        .size:           8
        .value_kind:     global_buffer
    .group_segment_fixed_size: 0
    .kernarg_segment_align: 8
    .kernarg_segment_size: 88
    .language:       OpenCL C
    .language_version:
      - 2
      - 0
    .max_flat_workgroup_size: 48
    .name:           fft_rtc_fwd_len528_factors_4_4_3_11_wgs_48_tpt_48_halfLds_sp_ip_CI_sbrr_dirReg
    .private_segment_fixed_size: 0
    .sgpr_count:     28
    .sgpr_spill_count: 0
    .symbol:         fft_rtc_fwd_len528_factors_4_4_3_11_wgs_48_tpt_48_halfLds_sp_ip_CI_sbrr_dirReg.kd
    .uniform_work_group_size: 1
    .uses_dynamic_stack: false
    .vgpr_count:     95
    .vgpr_spill_count: 0
    .wavefront_size: 64
amdhsa.target:   amdgcn-amd-amdhsa--gfx906
amdhsa.version:
  - 1
  - 2
...

	.end_amdgpu_metadata
